;; amdgpu-corpus repo=ROCm/rocFFT kind=compiled arch=gfx1100 opt=O3
	.text
	.amdgcn_target "amdgcn-amd-amdhsa--gfx1100"
	.amdhsa_code_object_version 6
	.protected	fft_rtc_back_len1089_factors_3_11_3_11_wgs_121_tpt_121_dp_ip_CI_sbrr_dirReg ; -- Begin function fft_rtc_back_len1089_factors_3_11_3_11_wgs_121_tpt_121_dp_ip_CI_sbrr_dirReg
	.globl	fft_rtc_back_len1089_factors_3_11_3_11_wgs_121_tpt_121_dp_ip_CI_sbrr_dirReg
	.p2align	8
	.type	fft_rtc_back_len1089_factors_3_11_3_11_wgs_121_tpt_121_dp_ip_CI_sbrr_dirReg,@function
fft_rtc_back_len1089_factors_3_11_3_11_wgs_121_tpt_121_dp_ip_CI_sbrr_dirReg: ; @fft_rtc_back_len1089_factors_3_11_3_11_wgs_121_tpt_121_dp_ip_CI_sbrr_dirReg
; %bb.0:
	s_clause 0x2
	s_load_b64 s[12:13], s[0:1], 0x18
	s_load_b128 s[4:7], s[0:1], 0x0
	s_load_b64 s[10:11], s[0:1], 0x50
	v_mul_u32_u24_e32 v1, 0x21e, v0
	v_mov_b32_e32 v3, 0
	v_mov_b32_e32 v4, 0
	s_delay_alu instid0(VALU_DEP_3) | instskip(SKIP_1) | instid1(VALU_DEP_1)
	v_lshrrev_b32_e32 v2, 16, v1
	v_mov_b32_e32 v1, 0
	v_dual_mov_b32 v6, v1 :: v_dual_add_nc_u32 v5, s15, v2
	s_waitcnt lgkmcnt(0)
	s_load_b64 s[8:9], s[12:13], 0x0
	v_cmp_lt_u64_e64 s2, s[6:7], 2
	s_delay_alu instid0(VALU_DEP_1)
	s_and_b32 vcc_lo, exec_lo, s2
	s_cbranch_vccnz .LBB0_8
; %bb.1:
	s_load_b64 s[2:3], s[0:1], 0x10
	v_mov_b32_e32 v3, 0
	s_add_u32 s14, s12, 8
	v_mov_b32_e32 v4, 0
	s_addc_u32 s15, s13, 0
	s_mov_b64 s[18:19], 1
	s_waitcnt lgkmcnt(0)
	s_add_u32 s16, s2, 8
	s_addc_u32 s17, s3, 0
.LBB0_2:                                ; =>This Inner Loop Header: Depth=1
	s_load_b64 s[20:21], s[16:17], 0x0
                                        ; implicit-def: $vgpr7_vgpr8
	s_mov_b32 s2, exec_lo
	s_waitcnt lgkmcnt(0)
	v_or_b32_e32 v2, s21, v6
	s_delay_alu instid0(VALU_DEP_1)
	v_cmpx_ne_u64_e32 0, v[1:2]
	s_xor_b32 s3, exec_lo, s2
	s_cbranch_execz .LBB0_4
; %bb.3:                                ;   in Loop: Header=BB0_2 Depth=1
	v_cvt_f32_u32_e32 v2, s20
	v_cvt_f32_u32_e32 v7, s21
	s_sub_u32 s2, 0, s20
	s_subb_u32 s22, 0, s21
	s_delay_alu instid0(VALU_DEP_1) | instskip(NEXT) | instid1(VALU_DEP_1)
	v_fmac_f32_e32 v2, 0x4f800000, v7
	v_rcp_f32_e32 v2, v2
	s_waitcnt_depctr 0xfff
	v_mul_f32_e32 v2, 0x5f7ffffc, v2
	s_delay_alu instid0(VALU_DEP_1) | instskip(NEXT) | instid1(VALU_DEP_1)
	v_mul_f32_e32 v7, 0x2f800000, v2
	v_trunc_f32_e32 v7, v7
	s_delay_alu instid0(VALU_DEP_1) | instskip(SKIP_1) | instid1(VALU_DEP_2)
	v_fmac_f32_e32 v2, 0xcf800000, v7
	v_cvt_u32_f32_e32 v7, v7
	v_cvt_u32_f32_e32 v2, v2
	s_delay_alu instid0(VALU_DEP_2) | instskip(NEXT) | instid1(VALU_DEP_2)
	v_mul_lo_u32 v8, s2, v7
	v_mul_hi_u32 v9, s2, v2
	v_mul_lo_u32 v10, s22, v2
	s_delay_alu instid0(VALU_DEP_2) | instskip(SKIP_1) | instid1(VALU_DEP_2)
	v_add_nc_u32_e32 v8, v9, v8
	v_mul_lo_u32 v9, s2, v2
	v_add_nc_u32_e32 v8, v8, v10
	s_delay_alu instid0(VALU_DEP_2) | instskip(NEXT) | instid1(VALU_DEP_2)
	v_mul_hi_u32 v10, v2, v9
	v_mul_lo_u32 v11, v2, v8
	v_mul_hi_u32 v12, v2, v8
	v_mul_hi_u32 v13, v7, v9
	v_mul_lo_u32 v9, v7, v9
	v_mul_hi_u32 v14, v7, v8
	v_mul_lo_u32 v8, v7, v8
	v_add_co_u32 v10, vcc_lo, v10, v11
	v_add_co_ci_u32_e32 v11, vcc_lo, 0, v12, vcc_lo
	s_delay_alu instid0(VALU_DEP_2) | instskip(NEXT) | instid1(VALU_DEP_2)
	v_add_co_u32 v9, vcc_lo, v10, v9
	v_add_co_ci_u32_e32 v9, vcc_lo, v11, v13, vcc_lo
	v_add_co_ci_u32_e32 v10, vcc_lo, 0, v14, vcc_lo
	s_delay_alu instid0(VALU_DEP_2) | instskip(NEXT) | instid1(VALU_DEP_2)
	v_add_co_u32 v8, vcc_lo, v9, v8
	v_add_co_ci_u32_e32 v9, vcc_lo, 0, v10, vcc_lo
	s_delay_alu instid0(VALU_DEP_2) | instskip(NEXT) | instid1(VALU_DEP_2)
	v_add_co_u32 v2, vcc_lo, v2, v8
	v_add_co_ci_u32_e32 v7, vcc_lo, v7, v9, vcc_lo
	s_delay_alu instid0(VALU_DEP_2) | instskip(SKIP_1) | instid1(VALU_DEP_3)
	v_mul_hi_u32 v8, s2, v2
	v_mul_lo_u32 v10, s22, v2
	v_mul_lo_u32 v9, s2, v7
	s_delay_alu instid0(VALU_DEP_1) | instskip(SKIP_1) | instid1(VALU_DEP_2)
	v_add_nc_u32_e32 v8, v8, v9
	v_mul_lo_u32 v9, s2, v2
	v_add_nc_u32_e32 v8, v8, v10
	s_delay_alu instid0(VALU_DEP_2) | instskip(NEXT) | instid1(VALU_DEP_2)
	v_mul_hi_u32 v10, v2, v9
	v_mul_lo_u32 v11, v2, v8
	v_mul_hi_u32 v12, v2, v8
	v_mul_hi_u32 v13, v7, v9
	v_mul_lo_u32 v9, v7, v9
	v_mul_hi_u32 v14, v7, v8
	v_mul_lo_u32 v8, v7, v8
	v_add_co_u32 v10, vcc_lo, v10, v11
	v_add_co_ci_u32_e32 v11, vcc_lo, 0, v12, vcc_lo
	s_delay_alu instid0(VALU_DEP_2) | instskip(NEXT) | instid1(VALU_DEP_2)
	v_add_co_u32 v9, vcc_lo, v10, v9
	v_add_co_ci_u32_e32 v9, vcc_lo, v11, v13, vcc_lo
	v_add_co_ci_u32_e32 v10, vcc_lo, 0, v14, vcc_lo
	s_delay_alu instid0(VALU_DEP_2) | instskip(NEXT) | instid1(VALU_DEP_2)
	v_add_co_u32 v8, vcc_lo, v9, v8
	v_add_co_ci_u32_e32 v9, vcc_lo, 0, v10, vcc_lo
	s_delay_alu instid0(VALU_DEP_2) | instskip(NEXT) | instid1(VALU_DEP_2)
	v_add_co_u32 v2, vcc_lo, v2, v8
	v_add_co_ci_u32_e32 v13, vcc_lo, v7, v9, vcc_lo
	s_delay_alu instid0(VALU_DEP_2) | instskip(SKIP_1) | instid1(VALU_DEP_3)
	v_mul_hi_u32 v14, v5, v2
	v_mad_u64_u32 v[9:10], null, v6, v2, 0
	v_mad_u64_u32 v[7:8], null, v5, v13, 0
	;; [unrolled: 1-line block ×3, first 2 shown]
	s_delay_alu instid0(VALU_DEP_2) | instskip(NEXT) | instid1(VALU_DEP_3)
	v_add_co_u32 v2, vcc_lo, v14, v7
	v_add_co_ci_u32_e32 v7, vcc_lo, 0, v8, vcc_lo
	s_delay_alu instid0(VALU_DEP_2) | instskip(NEXT) | instid1(VALU_DEP_2)
	v_add_co_u32 v2, vcc_lo, v2, v9
	v_add_co_ci_u32_e32 v2, vcc_lo, v7, v10, vcc_lo
	v_add_co_ci_u32_e32 v7, vcc_lo, 0, v12, vcc_lo
	s_delay_alu instid0(VALU_DEP_2) | instskip(NEXT) | instid1(VALU_DEP_2)
	v_add_co_u32 v2, vcc_lo, v2, v11
	v_add_co_ci_u32_e32 v9, vcc_lo, 0, v7, vcc_lo
	s_delay_alu instid0(VALU_DEP_2) | instskip(SKIP_1) | instid1(VALU_DEP_3)
	v_mul_lo_u32 v10, s21, v2
	v_mad_u64_u32 v[7:8], null, s20, v2, 0
	v_mul_lo_u32 v11, s20, v9
	s_delay_alu instid0(VALU_DEP_2) | instskip(NEXT) | instid1(VALU_DEP_2)
	v_sub_co_u32 v7, vcc_lo, v5, v7
	v_add3_u32 v8, v8, v11, v10
	s_delay_alu instid0(VALU_DEP_1) | instskip(NEXT) | instid1(VALU_DEP_1)
	v_sub_nc_u32_e32 v10, v6, v8
	v_subrev_co_ci_u32_e64 v10, s2, s21, v10, vcc_lo
	v_add_co_u32 v11, s2, v2, 2
	s_delay_alu instid0(VALU_DEP_1) | instskip(SKIP_3) | instid1(VALU_DEP_3)
	v_add_co_ci_u32_e64 v12, s2, 0, v9, s2
	v_sub_co_u32 v13, s2, v7, s20
	v_sub_co_ci_u32_e32 v8, vcc_lo, v6, v8, vcc_lo
	v_subrev_co_ci_u32_e64 v10, s2, 0, v10, s2
	v_cmp_le_u32_e32 vcc_lo, s20, v13
	s_delay_alu instid0(VALU_DEP_3) | instskip(SKIP_1) | instid1(VALU_DEP_4)
	v_cmp_eq_u32_e64 s2, s21, v8
	v_cndmask_b32_e64 v13, 0, -1, vcc_lo
	v_cmp_le_u32_e32 vcc_lo, s21, v10
	v_cndmask_b32_e64 v14, 0, -1, vcc_lo
	v_cmp_le_u32_e32 vcc_lo, s20, v7
	;; [unrolled: 2-line block ×3, first 2 shown]
	v_cndmask_b32_e64 v15, 0, -1, vcc_lo
	v_cmp_eq_u32_e32 vcc_lo, s21, v10
	s_delay_alu instid0(VALU_DEP_2) | instskip(SKIP_3) | instid1(VALU_DEP_3)
	v_cndmask_b32_e64 v7, v15, v7, s2
	v_cndmask_b32_e32 v10, v14, v13, vcc_lo
	v_add_co_u32 v13, vcc_lo, v2, 1
	v_add_co_ci_u32_e32 v14, vcc_lo, 0, v9, vcc_lo
	v_cmp_ne_u32_e32 vcc_lo, 0, v10
	s_delay_alu instid0(VALU_DEP_2) | instskip(NEXT) | instid1(VALU_DEP_4)
	v_cndmask_b32_e32 v8, v14, v12, vcc_lo
	v_cndmask_b32_e32 v10, v13, v11, vcc_lo
	v_cmp_ne_u32_e32 vcc_lo, 0, v7
	s_delay_alu instid0(VALU_DEP_2)
	v_dual_cndmask_b32 v7, v2, v10 :: v_dual_cndmask_b32 v8, v9, v8
.LBB0_4:                                ;   in Loop: Header=BB0_2 Depth=1
	s_and_not1_saveexec_b32 s2, s3
	s_cbranch_execz .LBB0_6
; %bb.5:                                ;   in Loop: Header=BB0_2 Depth=1
	v_cvt_f32_u32_e32 v2, s20
	s_sub_i32 s3, 0, s20
	s_delay_alu instid0(VALU_DEP_1) | instskip(SKIP_2) | instid1(VALU_DEP_1)
	v_rcp_iflag_f32_e32 v2, v2
	s_waitcnt_depctr 0xfff
	v_mul_f32_e32 v2, 0x4f7ffffe, v2
	v_cvt_u32_f32_e32 v2, v2
	s_delay_alu instid0(VALU_DEP_1) | instskip(NEXT) | instid1(VALU_DEP_1)
	v_mul_lo_u32 v7, s3, v2
	v_mul_hi_u32 v7, v2, v7
	s_delay_alu instid0(VALU_DEP_1) | instskip(NEXT) | instid1(VALU_DEP_1)
	v_add_nc_u32_e32 v2, v2, v7
	v_mul_hi_u32 v2, v5, v2
	s_delay_alu instid0(VALU_DEP_1) | instskip(SKIP_1) | instid1(VALU_DEP_2)
	v_mul_lo_u32 v7, v2, s20
	v_add_nc_u32_e32 v8, 1, v2
	v_sub_nc_u32_e32 v7, v5, v7
	s_delay_alu instid0(VALU_DEP_1) | instskip(SKIP_1) | instid1(VALU_DEP_2)
	v_subrev_nc_u32_e32 v9, s20, v7
	v_cmp_le_u32_e32 vcc_lo, s20, v7
	v_dual_cndmask_b32 v7, v7, v9 :: v_dual_cndmask_b32 v2, v2, v8
	s_delay_alu instid0(VALU_DEP_1) | instskip(NEXT) | instid1(VALU_DEP_2)
	v_cmp_le_u32_e32 vcc_lo, s20, v7
	v_add_nc_u32_e32 v8, 1, v2
	s_delay_alu instid0(VALU_DEP_1)
	v_dual_cndmask_b32 v7, v2, v8 :: v_dual_mov_b32 v8, v1
.LBB0_6:                                ;   in Loop: Header=BB0_2 Depth=1
	s_or_b32 exec_lo, exec_lo, s2
	s_load_b64 s[2:3], s[14:15], 0x0
	s_delay_alu instid0(VALU_DEP_1) | instskip(NEXT) | instid1(VALU_DEP_2)
	v_mul_lo_u32 v2, v8, s20
	v_mul_lo_u32 v11, v7, s21
	v_mad_u64_u32 v[9:10], null, v7, s20, 0
	s_add_u32 s18, s18, 1
	s_addc_u32 s19, s19, 0
	s_add_u32 s14, s14, 8
	s_addc_u32 s15, s15, 0
	;; [unrolled: 2-line block ×3, first 2 shown]
	s_delay_alu instid0(VALU_DEP_1) | instskip(SKIP_1) | instid1(VALU_DEP_2)
	v_add3_u32 v2, v10, v11, v2
	v_sub_co_u32 v9, vcc_lo, v5, v9
	v_sub_co_ci_u32_e32 v2, vcc_lo, v6, v2, vcc_lo
	s_waitcnt lgkmcnt(0)
	s_delay_alu instid0(VALU_DEP_2) | instskip(NEXT) | instid1(VALU_DEP_2)
	v_mul_lo_u32 v10, s3, v9
	v_mul_lo_u32 v2, s2, v2
	v_mad_u64_u32 v[5:6], null, s2, v9, v[3:4]
	v_cmp_ge_u64_e64 s2, s[18:19], s[6:7]
	s_delay_alu instid0(VALU_DEP_1) | instskip(NEXT) | instid1(VALU_DEP_2)
	s_and_b32 vcc_lo, exec_lo, s2
	v_add3_u32 v4, v10, v6, v2
	s_delay_alu instid0(VALU_DEP_3)
	v_mov_b32_e32 v3, v5
	s_cbranch_vccnz .LBB0_9
; %bb.7:                                ;   in Loop: Header=BB0_2 Depth=1
	v_dual_mov_b32 v5, v7 :: v_dual_mov_b32 v6, v8
	s_branch .LBB0_2
.LBB0_8:
	v_dual_mov_b32 v8, v6 :: v_dual_mov_b32 v7, v5
.LBB0_9:
	s_lshl_b64 s[2:3], s[6:7], 3
	v_mul_hi_u32 v1, 0x21d9eae, v0
	s_add_u32 s2, s12, s2
	s_addc_u32 s3, s13, s3
	s_load_b64 s[2:3], s[2:3], 0x0
	s_load_b64 s[0:1], s[0:1], 0x20
	s_delay_alu instid0(VALU_DEP_1) | instskip(NEXT) | instid1(VALU_DEP_1)
	v_mul_u32_u24_e32 v5, 0x79, v1
	v_sub_nc_u32_e32 v134, v0, v5
	s_delay_alu instid0(VALU_DEP_1)
	v_add_nc_u32_e32 v136, 0x79, v134
	v_add_nc_u32_e32 v135, 0xf2, v134
	s_waitcnt lgkmcnt(0)
	v_mul_lo_u32 v6, s2, v8
	v_mul_lo_u32 v9, s3, v7
	v_mad_u64_u32 v[1:2], null, s2, v7, v[3:4]
	v_cmp_gt_u64_e32 vcc_lo, s[0:1], v[7:8]
	v_cmp_le_u64_e64 s0, s[0:1], v[7:8]
	s_delay_alu instid0(VALU_DEP_3) | instskip(NEXT) | instid1(VALU_DEP_2)
	v_add3_u32 v2, v9, v2, v6
	s_and_saveexec_b32 s1, s0
	s_delay_alu instid0(SALU_CYCLE_1)
	s_xor_b32 s0, exec_lo, s1
; %bb.10:
	v_add_nc_u32_e32 v136, 0x79, v134
	v_add_nc_u32_e32 v135, 0xf2, v134
; %bb.11:
	s_or_saveexec_b32 s1, s0
	v_lshlrev_b64 v[84:85], 4, v[1:2]
                                        ; implicit-def: $vgpr22_vgpr23
                                        ; implicit-def: $vgpr30_vgpr31
                                        ; implicit-def: $vgpr26_vgpr27
                                        ; implicit-def: $vgpr18_vgpr19
                                        ; implicit-def: $vgpr34_vgpr35
                                        ; implicit-def: $vgpr14_vgpr15
                                        ; implicit-def: $vgpr10_vgpr11
                                        ; implicit-def: $vgpr6_vgpr7
                                        ; implicit-def: $vgpr2_vgpr3
	s_xor_b32 exec_lo, exec_lo, s1
	s_cbranch_execz .LBB0_13
; %bb.12:
	v_add_nc_u32_e32 v12, 0x16b, v134
	v_mad_u64_u32 v[0:1], null, s8, v134, 0
	v_mad_u64_u32 v[8:9], null, s8, v136, 0
	s_delay_alu instid0(VALU_DEP_3) | instskip(SKIP_1) | instid1(VALU_DEP_1)
	v_mad_u64_u32 v[2:3], null, s8, v12, 0
	v_add_co_u32 v29, s0, s10, v84
	v_add_co_ci_u32_e64 v30, s0, s11, v85, s0
	v_mad_u64_u32 v[20:21], null, s8, v135, 0
	s_delay_alu instid0(VALU_DEP_4) | instskip(SKIP_4) | instid1(VALU_DEP_4)
	v_mad_u64_u32 v[6:7], null, s9, v134, v[1:2]
	v_mov_b32_e32 v1, v3
	v_add_nc_u32_e32 v31, 0x3c8, v134
	v_add_nc_u32_e32 v26, 0x34f, v134
	;; [unrolled: 1-line block ×3, first 2 shown]
	v_mad_u64_u32 v[10:11], null, s9, v12, v[1:2]
	v_mov_b32_e32 v1, v6
	s_delay_alu instid0(VALU_DEP_4) | instskip(SKIP_4) | instid1(VALU_DEP_4)
	v_mad_u64_u32 v[18:19], null, s8, v26, 0
	v_add_nc_u32_e32 v15, 0x1e4, v134
	v_mad_u64_u32 v[22:23], null, s8, v28, 0
	v_mov_b32_e32 v3, v10
	v_lshlrev_b64 v[0:1], 4, v[0:1]
	v_mad_u64_u32 v[16:17], null, s8, v15, 0
	v_add_nc_u32_e32 v13, 0x2d6, v134
	s_delay_alu instid0(VALU_DEP_4) | instskip(NEXT) | instid1(VALU_DEP_4)
	v_lshlrev_b64 v[2:3], 4, v[2:3]
	v_add_co_u32 v0, s0, v29, v0
	s_delay_alu instid0(VALU_DEP_1) | instskip(SKIP_2) | instid1(VALU_DEP_1)
	v_add_co_ci_u32_e64 v1, s0, v30, v1, s0
	v_mov_b32_e32 v12, v17
	v_mad_u64_u32 v[4:5], null, s8, v13, 0
	v_mad_u64_u32 v[6:7], null, s9, v13, v[5:6]
	v_mov_b32_e32 v7, v9
	s_delay_alu instid0(VALU_DEP_4) | instskip(NEXT) | instid1(VALU_DEP_2)
	v_mad_u64_u32 v[13:14], null, s9, v15, v[12:13]
	v_mad_u64_u32 v[9:10], null, s9, v136, v[7:8]
	s_delay_alu instid0(VALU_DEP_4) | instskip(SKIP_1) | instid1(VALU_DEP_1)
	v_mov_b32_e32 v5, v6
	v_add_co_u32 v6, s0, v29, v2
	v_add_co_ci_u32_e64 v7, s0, v30, v3, s0
	s_delay_alu instid0(VALU_DEP_3)
	v_lshlrev_b64 v[10:11], 4, v[4:5]
	v_lshlrev_b64 v[8:9], 4, v[8:9]
	v_mov_b32_e32 v17, v13
	s_clause 0x1
	global_load_b128 v[0:3], v[0:1], off
	global_load_b128 v[4:7], v[6:7], off
	v_add_co_u32 v10, s0, v29, v10
	s_delay_alu instid0(VALU_DEP_1) | instskip(SKIP_1) | instid1(VALU_DEP_1)
	v_add_co_ci_u32_e64 v11, s0, v30, v11, s0
	v_add_co_u32 v14, s0, v29, v8
	v_add_co_ci_u32_e64 v15, s0, v30, v9, s0
	v_dual_mov_b32 v8, v19 :: v_dual_mov_b32 v9, v21
	v_lshlrev_b64 v[16:17], 4, v[16:17]
	s_delay_alu instid0(VALU_DEP_2) | instskip(SKIP_2) | instid1(VALU_DEP_4)
	v_mad_u64_u32 v[24:25], null, s9, v26, v[8:9]
	v_mad_u64_u32 v[25:26], null, s9, v135, v[9:10]
	;; [unrolled: 1-line block ×3, first 2 shown]
	v_add_co_u32 v16, s0, v29, v16
	s_delay_alu instid0(VALU_DEP_4)
	v_mov_b32_e32 v19, v24
	v_add_co_ci_u32_e64 v17, s0, v30, v17, s0
	v_mov_b32_e32 v21, v25
	v_mad_u64_u32 v[24:25], null, s9, v28, v[23:24]
	v_mov_b32_e32 v23, v27
	v_lshlrev_b64 v[18:19], 4, v[18:19]
	s_delay_alu instid0(VALU_DEP_4)
	v_lshlrev_b64 v[20:21], 4, v[20:21]
	s_clause 0x1
	global_load_b128 v[8:11], v[10:11], off
	global_load_b128 v[12:15], v[14:15], off
	v_mad_u64_u32 v[27:28], null, s9, v31, v[23:24]
	v_mov_b32_e32 v23, v24
	v_add_co_u32 v18, s0, v29, v18
	s_delay_alu instid0(VALU_DEP_1) | instskip(NEXT) | instid1(VALU_DEP_3)
	v_add_co_ci_u32_e64 v19, s0, v30, v19, s0
	v_lshlrev_b64 v[22:23], 4, v[22:23]
	v_add_co_u32 v20, s0, v29, v20
	v_lshlrev_b64 v[24:25], 4, v[26:27]
	v_add_co_ci_u32_e64 v21, s0, v30, v21, s0
	s_delay_alu instid0(VALU_DEP_4) | instskip(NEXT) | instid1(VALU_DEP_1)
	v_add_co_u32 v22, s0, v29, v22
	v_add_co_ci_u32_e64 v23, s0, v30, v23, s0
	s_delay_alu instid0(VALU_DEP_4) | instskip(NEXT) | instid1(VALU_DEP_1)
	v_add_co_u32 v36, s0, v29, v24
	v_add_co_ci_u32_e64 v37, s0, v30, v25, s0
	s_clause 0x4
	global_load_b128 v[32:35], v[16:17], off
	global_load_b128 v[16:19], v[18:19], off
	;; [unrolled: 1-line block ×5, first 2 shown]
.LBB0_13:
	s_or_b32 exec_lo, exec_lo, s1
	s_waitcnt vmcnt(6)
	v_add_f64 v[36:37], v[8:9], v[4:5]
	v_add_f64 v[38:39], v[10:11], v[6:7]
	s_waitcnt vmcnt(3)
	v_add_f64 v[40:41], v[16:17], v[32:33]
	v_add_f64 v[42:43], v[18:19], v[34:35]
	;; [unrolled: 3-line block ×3, first 2 shown]
	v_add_f64 v[48:49], v[4:5], v[0:1]
	v_add_f64 v[50:51], v[6:7], -v[10:11]
	v_add_f64 v[6:7], v[6:7], v[2:3]
	v_add_f64 v[52:53], v[32:33], v[12:13]
	;; [unrolled: 1-line block ×5, first 2 shown]
	v_add_f64 v[60:61], v[32:33], -v[16:17]
	v_add_f64 v[62:63], v[30:31], -v[22:23]
	s_mov_b32 s0, 0xe8584caa
	s_mov_b32 s1, 0xbfebb67a
	;; [unrolled: 1-line block ×4, first 2 shown]
	v_fma_f64 v[0:1], v[36:37], -0.5, v[0:1]
	v_add_f64 v[36:37], v[4:5], -v[8:9]
	v_fma_f64 v[2:3], v[38:39], -0.5, v[2:3]
	v_add_f64 v[38:39], v[34:35], -v[18:19]
	v_fma_f64 v[40:41], v[40:41], -0.5, v[12:13]
	v_fma_f64 v[42:43], v[42:43], -0.5, v[14:15]
	;; [unrolled: 1-line block ×3, first 2 shown]
	v_add_f64 v[44:45], v[28:29], -v[20:21]
	v_fma_f64 v[26:27], v[46:47], -0.5, v[26:27]
	v_add_f64 v[8:9], v[8:9], v[48:49]
	v_add_f64 v[10:11], v[10:11], v[6:7]
	v_add_f64 v[16:17], v[16:17], v[52:53]
	v_add_f64 v[18:19], v[18:19], v[54:55]
	v_add_f64 v[4:5], v[20:21], v[56:57]
	v_add_f64 v[6:7], v[22:23], v[58:59]
	v_fma_f64 v[32:33], v[50:51], s[0:1], v[0:1]
	v_fma_f64 v[28:29], v[50:51], s[2:3], v[0:1]
	;; [unrolled: 1-line block ×12, first 2 shown]
	v_mad_u32_u24 v36, v134, 48, 0
	v_mad_i32_i24 v37, v136, 48, 0
	v_cmp_gt_u32_e64 s0, 0x63, v134
	v_mad_i32_i24 v38, v135, 48, 0
                                        ; implicit-def: $vgpr42_vgpr43
	ds_store_b128 v36, v[8:11]
	ds_store_b128 v36, v[32:35] offset:16
	ds_store_b128 v36, v[28:31] offset:32
	ds_store_b128 v37, v[16:19]
	ds_store_b128 v37, v[12:15] offset:16
	ds_store_b128 v37, v[0:3] offset:32
	;; [unrolled: 3-line block ×3, first 2 shown]
	s_waitcnt lgkmcnt(0)
	s_barrier
	buffer_gl0_inv
                                        ; implicit-def: $vgpr38_vgpr39
	s_and_saveexec_b32 s1, s0
	s_cbranch_execz .LBB0_15
; %bb.14:
	v_lshlrev_b32_e32 v0, 5, v134
	s_delay_alu instid0(VALU_DEP_1)
	v_sub_nc_u32_e32 v40, v36, v0
	ds_load_b128 v[8:11], v40
	ds_load_b128 v[32:35], v40 offset:1584
	ds_load_b128 v[28:31], v40 offset:3168
	;; [unrolled: 1-line block ×10, first 2 shown]
.LBB0_15:
	s_or_b32 exec_lo, exec_lo, s1
	v_and_b32_e32 v137, 0xff, v134
	s_mov_b32 s14, 0xf8bb580b
	s_mov_b32 s2, 0x8764f0ba
	;; [unrolled: 1-line block ×4, first 2 shown]
	v_mul_lo_u16 v44, 0xab, v137
	s_mov_b32 s3, 0x3feaeb8c
	s_mov_b32 s13, 0xbfed1bb4
	;; [unrolled: 1-line block ×4, first 2 shown]
	v_lshrrev_b16 v138, 9, v44
	s_mov_b32 s16, 0x7f775887
	s_mov_b32 s22, 0xbb3a28a1
	;; [unrolled: 1-line block ×4, first 2 shown]
	v_mul_lo_u16 v44, v138, 3
	s_mov_b32 s24, 0x43842ef
	s_mov_b32 s18, 0x640f44db
	;; [unrolled: 1-line block ×4, first 2 shown]
	v_sub_nc_u16 v44, v134, v44
	s_mov_b32 s25, 0xbfefac9e
	s_mov_b32 s19, 0xbfc2375f
	;; [unrolled: 1-line block ×4, first 2 shown]
	v_and_b32_e32 v139, 0xff, v44
	s_mov_b32 s35, 0x3fefac9e
	s_mov_b32 s34, s24
	;; [unrolled: 1-line block ×4, first 2 shown]
	v_mul_u32_u24_e32 v44, 10, v139
	s_mov_b32 s28, s30
	s_mov_b32 s26, s14
	s_delay_alu instid0(VALU_DEP_1)
	v_lshlrev_b32_e32 v56, 4, v44
	s_clause 0x9
	global_load_b128 v[44:47], v56, s[4:5]
	global_load_b128 v[48:51], v56, s[4:5] offset:144
	global_load_b128 v[52:55], v56, s[4:5] offset:16
	;; [unrolled: 1-line block ×9, first 2 shown]
	s_waitcnt vmcnt(0) lgkmcnt(0)
	s_barrier
	buffer_gl0_inv
	v_mul_f64 v[56:57], v[32:33], v[46:47]
	v_mul_f64 v[66:67], v[40:41], v[50:51]
	;; [unrolled: 1-line block ×10, first 2 shown]
	v_fma_f64 v[56:57], v[34:35], v[44:45], -v[56:57]
	v_fma_f64 v[34:35], v[42:43], v[48:49], -v[66:67]
	v_mul_f64 v[42:43], v[30:31], v[54:55]
	v_mul_f64 v[54:55], v[16:17], v[64:65]
	v_fma_f64 v[46:47], v[30:31], v[52:53], -v[76:77]
	v_fma_f64 v[38:39], v[38:39], v[58:59], -v[82:83]
	v_fma_f64 v[60:61], v[32:33], v[44:45], v[86:87]
	v_fma_f64 v[30:31], v[40:41], v[48:49], v[50:51]
	v_mul_f64 v[48:49], v[18:19], v[64:65]
	v_mul_f64 v[50:51], v[12:13], v[74:75]
	;; [unrolled: 1-line block ×3, first 2 shown]
	v_fma_f64 v[26:27], v[26:27], v[68:69], -v[88:89]
	v_add_f64 v[40:41], v[56:57], -v[34:35]
	v_add_f64 v[32:33], v[56:57], v[34:35]
	v_fma_f64 v[76:77], v[28:29], v[52:53], v[42:43]
	v_fma_f64 v[66:67], v[18:19], v[62:63], -v[54:55]
	v_fma_f64 v[18:19], v[36:37], v[58:59], v[90:91]
	v_add_f64 v[64:65], v[46:47], -v[38:39]
	v_add_f64 v[28:29], v[46:47], v[38:39]
	v_add_f64 v[42:43], v[60:61], v[30:31]
	v_add_f64 v[100:101], v[60:61], -v[30:31]
	v_mul_f64 v[52:53], v[14:15], v[74:75]
	v_mul_f64 v[54:55], v[0:1], v[118:119]
	;; [unrolled: 1-line block ×4, first 2 shown]
	v_fma_f64 v[132:133], v[16:17], v[62:63], v[48:49]
	v_fma_f64 v[126:127], v[14:15], v[72:73], -v[50:51]
	v_fma_f64 v[14:15], v[24:25], v[68:69], v[70:71]
	v_fma_f64 v[16:17], v[22:23], v[78:79], -v[82:83]
	v_mul_f64 v[80:81], v[2:3], v[118:119]
	v_fma_f64 v[118:119], v[4:5], v[140:141], v[104:105]
	v_mul_f64 v[36:37], v[40:41], s[14:15]
	v_mul_f64 v[44:45], v[32:33], s[2:3]
	;; [unrolled: 1-line block ×4, first 2 shown]
	v_add_f64 v[110:111], v[66:67], -v[26:27]
	v_add_f64 v[24:25], v[66:67], v[26:27]
	v_add_f64 v[90:91], v[76:77], v[18:19]
	v_add_f64 v[128:129], v[76:77], -v[18:19]
	v_mul_f64 v[92:93], v[64:65], s[12:13]
	v_mul_f64 v[102:103], v[28:29], s[6:7]
	;; [unrolled: 1-line block ×4, first 2 shown]
	v_fma_f64 v[130:131], v[12:13], v[72:73], v[52:53]
	v_fma_f64 v[122:123], v[2:3], v[116:117], -v[54:55]
	v_fma_f64 v[94:95], v[6:7], v[140:141], -v[58:59]
	v_fma_f64 v[48:49], v[20:21], v[78:79], v[74:75]
	v_add_f64 v[68:69], v[132:133], v[14:15]
	v_add_f64 v[120:121], v[132:133], -v[14:15]
	v_add_f64 v[88:89], v[126:127], -v[16:17]
	v_add_f64 v[20:21], v[126:127], v[16:17]
	v_fma_f64 v[124:125], v[0:1], v[116:117], v[80:81]
	v_fma_f64 v[22:23], v[42:43], s[2:3], -v[36:37]
	v_fma_f64 v[50:51], v[100:101], s[14:15], v[44:45]
	v_fma_f64 v[62:63], v[42:43], s[6:7], -v[106:107]
	v_fma_f64 v[70:71], v[100:101], s[12:13], v[114:115]
	v_mul_f64 v[82:83], v[110:111], s[24:25]
	v_mul_f64 v[86:87], v[24:25], s[18:19]
	;; [unrolled: 1-line block ×4, first 2 shown]
	v_fma_f64 v[2:3], v[90:91], s[6:7], -v[92:93]
	v_fma_f64 v[6:7], v[128:129], s[12:13], v[102:103]
	v_fma_f64 v[52:53], v[90:91], s[16:17], -v[108:109]
	v_fma_f64 v[58:59], v[128:129], s[22:23], v[112:113]
	v_add_f64 v[74:75], v[122:123], -v[94:95]
	v_add_f64 v[54:55], v[130:131], v[48:49]
	v_add_f64 v[116:117], v[130:131], -v[48:49]
	v_add_f64 v[12:13], v[122:123], v[94:95]
	v_mul_f64 v[78:79], v[88:89], s[34:35]
	v_mul_f64 v[72:73], v[20:21], s[16:17]
	;; [unrolled: 1-line block ×3, first 2 shown]
	v_add_f64 v[104:105], v[124:125], -v[118:119]
	v_add_f64 v[22:23], v[8:9], v[22:23]
	v_add_f64 v[50:51], v[10:11], v[50:51]
	;; [unrolled: 1-line block ×4, first 2 shown]
	v_mul_f64 v[70:71], v[88:89], s[22:23]
	v_fma_f64 v[0:1], v[68:69], s[18:19], -v[82:83]
	v_fma_f64 v[4:5], v[120:121], s[24:25], v[86:87]
	v_fma_f64 v[140:141], v[68:69], s[20:21], -v[96:97]
	v_fma_f64 v[144:145], v[120:121], s[30:31], v[98:99]
	;; [unrolled: 2-line block ×3, first 2 shown]
	v_fma_f64 v[154:155], v[116:117], s[34:35], v[80:81]
	v_add_f64 v[2:3], v[2:3], v[22:23]
	v_add_f64 v[6:7], v[6:7], v[50:51]
	;; [unrolled: 1-line block ×5, first 2 shown]
	v_mul_f64 v[50:51], v[74:75], s[28:29]
	v_mul_f64 v[52:53], v[12:13], s[20:21]
	;; [unrolled: 1-line block ×4, first 2 shown]
	v_fma_f64 v[148:149], v[54:55], s[16:17], -v[70:71]
	v_add_f64 v[0:1], v[0:1], v[2:3]
	v_add_f64 v[2:3], v[4:5], v[6:7]
	;; [unrolled: 1-line block ×4, first 2 shown]
	v_fma_f64 v[140:141], v[22:23], s[20:21], -v[50:51]
	v_fma_f64 v[142:143], v[104:105], s[28:29], v[52:53]
	v_fma_f64 v[144:145], v[22:23], s[2:3], -v[58:59]
	v_fma_f64 v[146:147], v[104:105], s[26:27], v[62:63]
	v_add_f64 v[0:1], v[148:149], v[0:1]
	v_add_f64 v[2:3], v[150:151], v[2:3]
	;; [unrolled: 1-line block ×4, first 2 shown]
	s_delay_alu instid0(VALU_DEP_4) | instskip(NEXT) | instid1(VALU_DEP_4)
	v_add_f64 v[4:5], v[140:141], v[0:1]
	v_add_f64 v[6:7], v[142:143], v[2:3]
	s_delay_alu instid0(VALU_DEP_4) | instskip(NEXT) | instid1(VALU_DEP_4)
	v_add_f64 v[0:1], v[144:145], v[148:149]
	v_add_f64 v[2:3], v[146:147], v[150:151]
	s_and_saveexec_b32 s1, s0
	s_cbranch_execz .LBB0_17
; %bb.16:
	v_add_f64 v[56:57], v[10:11], v[56:57]
	v_add_f64 v[60:61], v[8:9], v[60:61]
	v_mul_f64 v[142:143], v[42:43], s[6:7]
	v_mul_f64 v[140:141], v[40:41], s[28:29]
	;; [unrolled: 1-line block ×31, first 2 shown]
	v_add_f64 v[46:47], v[56:57], v[46:47]
	v_add_f64 v[56:57], v[60:61], v[76:77]
	v_mul_f64 v[76:77], v[100:101], s[24:25]
	v_mul_f64 v[60:61], v[100:101], s[28:29]
	v_add_f64 v[106:107], v[142:143], v[106:107]
	v_fma_f64 v[198:199], v[42:43], s[20:21], -v[140:141]
	v_fma_f64 v[142:143], v[42:43], s[16:17], v[144:145]
	v_fma_f64 v[140:141], v[42:43], s[20:21], v[140:141]
	v_fma_f64 v[144:145], v[42:43], s[16:17], -v[144:145]
	v_add_f64 v[36:37], v[146:147], v[36:37]
	v_fma_f64 v[146:147], v[28:29], s[18:19], -v[150:151]
	v_add_f64 v[112:113], v[112:113], -v[158:159]
	v_add_f64 v[102:103], v[102:103], -v[128:129]
	v_fma_f64 v[128:129], v[90:91], s[2:3], v[170:171]
	v_fma_f64 v[158:159], v[90:91], s[20:21], -v[64:65]
	v_fma_f64 v[64:65], v[90:91], s[20:21], v[64:65]
	v_add_f64 v[98:99], v[98:99], -v[156:157]
	v_add_f64 v[96:97], v[162:163], v[96:97]
	v_add_f64 v[86:87], v[86:87], -v[164:165]
	v_add_f64 v[82:83], v[168:169], v[82:83]
	v_fma_f64 v[156:157], v[24:25], s[2:3], v[182:183]
	v_fma_f64 v[162:163], v[24:25], s[2:3], -v[182:183]
	v_fma_f64 v[164:165], v[68:69], s[16:17], -v[184:185]
	v_fma_f64 v[168:169], v[68:69], s[16:17], v[184:185]
	v_fma_f64 v[182:183], v[68:69], s[2:3], v[186:187]
	v_add_f64 v[80:81], v[80:81], -v[154:155]
	v_add_f64 v[78:79], v[160:161], v[78:79]
	v_add_f64 v[70:71], v[166:167], v[70:71]
	;; [unrolled: 1-line block ×4, first 2 shown]
	v_mul_f64 v[132:133], v[100:101], s[12:13]
	v_mul_f64 v[66:67], v[100:101], s[22:23]
	;; [unrolled: 1-line block ×3, first 2 shown]
	v_fma_f64 v[202:203], v[32:33], s[18:19], -v[76:77]
	v_fma_f64 v[196:197], v[32:33], s[20:21], v[60:61]
	v_fma_f64 v[60:61], v[32:33], s[20:21], -v[60:61]
	s_mov_b32 s13, 0x3fed1bb4
	v_add_f64 v[106:107], v[8:9], v[106:107]
	v_mul_f64 v[110:111], v[110:111], s[12:13]
	v_add_f64 v[142:143], v[8:9], v[142:143]
	v_add_f64 v[140:141], v[8:9], v[140:141]
	;; [unrolled: 1-line block ×3, first 2 shown]
	v_mul_f64 v[88:89], v[88:89], s[12:13]
	v_add_f64 v[46:47], v[46:47], v[126:127]
	v_add_f64 v[56:57], v[56:57], v[130:131]
	v_mul_f64 v[126:127], v[90:91], s[16:17]
	v_add_f64 v[114:115], v[114:115], -v[132:133]
	v_fma_f64 v[132:133], v[42:43], s[18:19], v[40:41]
	v_fma_f64 v[200:201], v[32:33], s[16:17], v[66:67]
	v_fma_f64 v[66:67], v[32:33], s[16:17], -v[66:67]
	v_fma_f64 v[32:33], v[32:33], s[18:19], v[76:77]
	v_fma_f64 v[40:41], v[42:43], s[18:19], -v[40:41]
	v_add_f64 v[42:43], v[44:45], -v[100:101]
	v_mul_f64 v[100:101], v[120:121], s[12:13]
	v_fma_f64 v[120:121], v[28:29], s[2:3], v[148:149]
	v_add_f64 v[60:61], v[10:11], v[60:61]
	v_mul_f64 v[130:131], v[116:117], s[22:23]
	v_mul_f64 v[76:77], v[104:105], s[22:23]
	v_add_f64 v[44:45], v[46:47], v[122:123]
	v_add_f64 v[46:47], v[56:57], v[124:125]
	v_fma_f64 v[122:123], v[28:29], s[2:3], -v[148:149]
	v_fma_f64 v[124:125], v[28:29], s[18:19], v[150:151]
	v_fma_f64 v[148:149], v[28:29], s[20:21], v[152:153]
	v_fma_f64 v[28:29], v[28:29], s[20:21], -v[152:153]
	v_add_f64 v[108:109], v[126:127], v[108:109]
	v_fma_f64 v[126:127], v[90:91], s[2:3], -v[170:171]
	v_fma_f64 v[150:151], v[90:91], s[18:19], -v[172:173]
	v_fma_f64 v[152:153], v[90:91], s[18:19], v[172:173]
	v_add_f64 v[90:91], v[174:175], v[92:93]
	v_add_f64 v[174:175], v[10:11], v[202:203]
	v_add_f64 v[114:115], v[10:11], v[114:115]
	v_add_f64 v[92:93], v[10:11], v[196:197]
	v_add_f64 v[132:133], v[8:9], v[132:133]
	v_add_f64 v[170:171], v[8:9], v[198:199]
	v_add_f64 v[66:67], v[10:11], v[66:67]
	v_add_f64 v[172:173], v[10:11], v[200:201]
	v_add_f64 v[32:33], v[10:11], v[32:33]
	v_add_f64 v[40:41], v[8:9], v[40:41]
	v_add_f64 v[10:11], v[10:11], v[42:43]
	v_add_f64 v[8:9], v[8:9], v[36:37]
	v_fma_f64 v[184:185], v[24:25], s[6:7], v[100:101]
	v_mul_f64 v[56:57], v[74:75], s[24:25]
	v_mul_f64 v[36:37], v[74:75], s[22:23]
	v_mul_f64 v[74:75], v[74:75], s[12:13]
	v_add_f64 v[72:73], v[72:73], -v[130:131]
	v_fma_f64 v[130:131], v[54:55], s[20:21], v[188:189]
	v_add_f64 v[42:43], v[44:45], v[94:95]
	v_add_f64 v[44:45], v[46:47], v[118:119]
	v_mul_f64 v[94:95], v[116:117], s[12:13]
	v_fma_f64 v[116:117], v[24:25], s[16:17], v[180:181]
	v_fma_f64 v[118:119], v[24:25], s[16:17], -v[180:181]
	v_fma_f64 v[24:25], v[24:25], s[6:7], -v[100:101]
	v_add_f64 v[106:107], v[108:109], v[106:107]
	v_fma_f64 v[180:181], v[68:69], s[2:3], -v[186:187]
	v_fma_f64 v[100:101], v[68:69], s[6:7], -v[110:111]
	v_fma_f64 v[68:69], v[68:69], s[6:7], v[110:111]
	v_add_f64 v[60:61], v[122:123], v[60:61]
	v_add_f64 v[28:29], v[28:29], v[174:175]
	v_add_f64 v[112:113], v[112:113], v[114:115]
	v_add_f64 v[92:93], v[120:121], v[92:93]
	v_add_f64 v[64:65], v[64:65], v[132:133]
	v_add_f64 v[110:111], v[126:127], v[170:171]
	v_add_f64 v[66:67], v[146:147], v[66:67]
	v_add_f64 v[108:109], v[152:153], v[142:143]
	v_add_f64 v[120:121], v[128:129], v[140:141]
	v_add_f64 v[122:123], v[124:125], v[172:173]
	v_add_f64 v[114:115], v[150:151], v[144:145]
	v_add_f64 v[32:33], v[148:149], v[32:33]
	v_add_f64 v[40:41], v[158:159], v[40:41]
	v_add_f64 v[10:11], v[102:103], v[10:11]
	v_add_f64 v[8:9], v[90:91], v[8:9]
	v_mul_f64 v[46:47], v[104:105], s[26:27]
	v_mul_f64 v[90:91], v[104:105], s[12:13]
	v_fma_f64 v[102:103], v[20:21], s[20:21], v[176:177]
	v_fma_f64 v[104:105], v[20:21], s[20:21], -v[176:177]
	v_fma_f64 v[124:125], v[20:21], s[2:3], v[178:179]
	v_fma_f64 v[126:127], v[20:21], s[2:3], -v[178:179]
	v_fma_f64 v[128:129], v[54:55], s[20:21], -v[188:189]
	;; [unrolled: 1-line block ×3, first 2 shown]
	v_fma_f64 v[140:141], v[54:55], s[2:3], v[190:191]
	v_add_f64 v[16:17], v[42:43], v[16:17]
	v_add_f64 v[42:43], v[44:45], v[48:49]
	v_mul_f64 v[44:45], v[22:23], s[2:3]
	v_mul_f64 v[48:49], v[22:23], s[20:21]
	v_fma_f64 v[142:143], v[20:21], s[6:7], v[94:95]
	v_fma_f64 v[20:21], v[20:21], s[6:7], -v[94:95]
	v_add_f64 v[96:97], v[96:97], v[106:107]
	v_fma_f64 v[94:95], v[54:55], s[6:7], -v[88:89]
	v_fma_f64 v[54:55], v[54:55], s[6:7], v[88:89]
	v_fma_f64 v[106:107], v[22:23], s[16:17], v[36:37]
	v_add_f64 v[60:61], v[118:119], v[60:61]
	v_add_f64 v[24:25], v[24:25], v[28:29]
	;; [unrolled: 1-line block ×15, first 2 shown]
	v_fma_f64 v[100:101], v[22:23], s[16:17], -v[36:37]
	v_add_f64 v[36:37], v[62:63], -v[46:47]
	v_add_f64 v[46:47], v[52:53], -v[192:193]
	v_fma_f64 v[52:53], v[22:23], s[6:7], -v[74:75]
	v_fma_f64 v[62:63], v[22:23], s[6:7], v[74:75]
	v_fma_f64 v[82:83], v[12:13], s[18:19], -v[194:195]
	v_fma_f64 v[86:87], v[12:13], s[16:17], v[76:77]
	v_fma_f64 v[76:77], v[12:13], s[16:17], -v[76:77]
	v_add_f64 v[16:17], v[16:17], v[26:27]
	v_add_f64 v[14:15], v[42:43], v[14:15]
	;; [unrolled: 1-line block ×3, first 2 shown]
	v_fma_f64 v[26:27], v[12:13], s[18:19], v[194:195]
	v_add_f64 v[48:49], v[48:49], v[50:51]
	v_fma_f64 v[50:51], v[12:13], s[6:7], v[90:91]
	v_add_f64 v[74:75], v[78:79], v[96:97]
	v_fma_f64 v[58:59], v[12:13], s[6:7], -v[90:91]
	v_fma_f64 v[42:43], v[22:23], s[18:19], -v[56:57]
	v_fma_f64 v[56:57], v[22:23], s[18:19], v[56:57]
	v_add_f64 v[20:21], v[20:21], v[60:61]
	v_add_f64 v[24:25], v[126:127], v[24:25]
	;; [unrolled: 1-line block ×32, first 2 shown]
	v_and_b32_e32 v28, 0xffff, v138
	v_lshlrev_b32_e32 v29, 4, v139
	s_delay_alu instid0(VALU_DEP_2) | instskip(NEXT) | instid1(VALU_DEP_1)
	v_mul_u32_u24_e32 v28, 0x210, v28
	v_add3_u32 v28, 0, v28, v29
	v_add_f64 v[46:47], v[80:81], v[34:35]
	v_add_f64 v[44:45], v[88:89], v[30:31]
	;; [unrolled: 1-line block ×3, first 2 shown]
	ds_store_b128 v28, v[36:39] offset:96
	ds_store_b128 v28, v[24:27] offset:144
	;; [unrolled: 1-line block ×8, first 2 shown]
	ds_store_b128 v28, v[44:47]
	ds_store_b128 v28, v[30:33] offset:48
	ds_store_b128 v28, v[4:7] offset:480
.LBB0_17:
	s_or_b32 exec_lo, exec_lo, s1
	v_and_b32_e32 v8, 0xff, v136
	v_mul_lo_u16 v9, 0xf9, v137
	v_and_b32_e32 v10, 0xffff, v135
	s_waitcnt lgkmcnt(0)
	s_barrier
	v_mul_lo_u16 v8, 0xf9, v8
	v_lshrrev_b16 v79, 13, v9
	v_mul_u32_u24_e32 v9, 0xf83f, v10
	buffer_gl0_inv
	v_lshl_add_u32 v44, v134, 4, 0
	v_lshrrev_b16 v80, 13, v8
	v_mul_lo_u16 v8, v79, 33
	v_lshrrev_b32_e32 v81, 21, v9
	s_mov_b32 s2, 0xe8584caa
	s_mov_b32 s3, 0xbfebb67a
	v_mul_lo_u16 v9, v80, 33
	v_sub_nc_u16 v8, v134, v8
	v_mul_lo_u16 v10, v81, 33
	s_mov_b32 s7, 0x3febb67a
	s_mov_b32 s6, s2
	v_sub_nc_u16 v9, v136, v9
	v_and_b32_e32 v82, 0xff, v8
	v_sub_nc_u16 v8, v135, v10
	s_delay_alu instid0(VALU_DEP_3) | instskip(NEXT) | instid1(VALU_DEP_3)
	v_and_b32_e32 v83, 0xff, v9
	v_lshlrev_b32_e32 v12, 5, v82
	s_delay_alu instid0(VALU_DEP_3)
	v_and_b32_e32 v86, 0xffff, v8
	s_clause 0x1
	global_load_b128 v[8:11], v12, s[4:5] offset:480
	global_load_b128 v[12:15], v12, s[4:5] offset:496
	v_lshlrev_b32_e32 v20, 5, v83
	v_lshlrev_b32_e32 v28, 5, v86
	s_clause 0x3
	global_load_b128 v[16:19], v20, s[4:5] offset:480
	global_load_b128 v[20:23], v20, s[4:5] offset:496
	;; [unrolled: 1-line block ×4, first 2 shown]
	ds_load_b128 v[32:35], v44 offset:5808
	ds_load_b128 v[36:39], v44 offset:11616
	;; [unrolled: 1-line block ×6, first 2 shown]
	s_waitcnt vmcnt(5) lgkmcnt(5)
	v_mul_f64 v[57:58], v[34:35], v[10:11]
	s_waitcnt vmcnt(4) lgkmcnt(4)
	v_mul_f64 v[59:60], v[38:39], v[14:15]
	v_mul_f64 v[10:11], v[32:33], v[10:11]
	v_mul_f64 v[14:15], v[36:37], v[14:15]
	s_waitcnt vmcnt(3) lgkmcnt(3)
	v_mul_f64 v[61:62], v[42:43], v[18:19]
	s_waitcnt vmcnt(2) lgkmcnt(2)
	v_mul_f64 v[63:64], v[47:48], v[22:23]
	v_mul_f64 v[18:19], v[40:41], v[18:19]
	v_mul_f64 v[22:23], v[45:46], v[22:23]
	;; [unrolled: 6-line block ×3, first 2 shown]
	v_fma_f64 v[32:33], v[32:33], v[8:9], v[57:58]
	v_fma_f64 v[36:37], v[36:37], v[12:13], v[59:60]
	v_fma_f64 v[34:35], v[34:35], v[8:9], -v[10:11]
	v_fma_f64 v[38:39], v[38:39], v[12:13], -v[14:15]
	v_fma_f64 v[40:41], v[40:41], v[16:17], v[61:62]
	v_fma_f64 v[45:46], v[45:46], v[20:21], v[63:64]
	v_fma_f64 v[42:43], v[42:43], v[16:17], -v[18:19]
	v_fma_f64 v[20:21], v[47:48], v[20:21], -v[22:23]
	;; [unrolled: 4-line block ×3, first 2 shown]
	v_lshl_add_u32 v12, v136, 4, 0
	v_lshl_add_u32 v16, v135, 4, 0
	ds_load_b128 v[8:11], v44
	ds_load_b128 v[12:15], v12
	;; [unrolled: 1-line block ×3, first 2 shown]
	s_waitcnt lgkmcnt(0)
	s_barrier
	buffer_gl0_inv
	v_add_f64 v[57:58], v[8:9], v[32:33]
	v_add_f64 v[28:29], v[32:33], v[36:37]
	v_add_f64 v[71:72], v[32:33], -v[36:37]
	v_add_f64 v[30:31], v[34:35], v[38:39]
	v_add_f64 v[59:60], v[34:35], -v[38:39]
	v_add_f64 v[49:50], v[40:41], v[45:46]
	v_add_f64 v[34:35], v[10:11], v[34:35]
	;; [unrolled: 1-line block ×9, first 2 shown]
	v_add_f64 v[42:43], v[42:43], -v[20:21]
	v_add_f64 v[40:41], v[40:41], -v[45:46]
	v_add_f64 v[75:76], v[24:25], -v[26:27]
	v_add_f64 v[77:78], v[22:23], -v[47:48]
	v_fma_f64 v[69:70], v[28:29], -0.5, v[8:9]
	v_add_f64 v[8:9], v[57:58], v[36:37]
	v_fma_f64 v[73:74], v[30:31], -0.5, v[10:11]
	v_fma_f64 v[49:50], v[49:50], -0.5, v[12:13]
	v_add_f64 v[10:11], v[34:35], v[38:39]
	v_fma_f64 v[51:52], v[51:52], -0.5, v[14:15]
	v_add_f64 v[12:13], v[61:62], v[45:46]
	v_fma_f64 v[53:54], v[53:54], -0.5, v[16:17]
	v_add_f64 v[14:15], v[63:64], v[20:21]
	v_fma_f64 v[55:56], v[55:56], -0.5, v[18:19]
	v_add_f64 v[28:29], v[65:66], v[47:48]
	v_add_f64 v[30:31], v[67:68], v[26:27]
	v_and_b32_e32 v45, 0xffff, v79
	v_and_b32_e32 v46, 0xffff, v80
	v_lshlrev_b32_e32 v47, 4, v82
	v_mul_u32_u24_e32 v48, 0x630, v81
	s_delay_alu instid0(VALU_DEP_4) | instskip(NEXT) | instid1(VALU_DEP_4)
	v_mul_u32_u24_e32 v45, 0x630, v45
	v_mul_u32_u24_e32 v46, 0x630, v46
	s_delay_alu instid0(VALU_DEP_2) | instskip(SKIP_1) | instid1(VALU_DEP_1)
	v_add3_u32 v45, 0, v45, v47
	v_lshlrev_b32_e32 v47, 4, v83
	v_add3_u32 v46, 0, v46, v47
	v_fma_f64 v[32:33], v[59:60], s[2:3], v[69:70]
	v_fma_f64 v[16:17], v[59:60], s[6:7], v[69:70]
	;; [unrolled: 1-line block ×12, first 2 shown]
	v_lshlrev_b32_e32 v49, 4, v86
	s_delay_alu instid0(VALU_DEP_1)
	v_add3_u32 v47, 0, v48, v49
	ds_store_b128 v45, v[8:11]
	ds_store_b128 v45, v[32:35] offset:528
	ds_store_b128 v45, v[16:19] offset:1056
	ds_store_b128 v46, v[12:15]
	ds_store_b128 v46, v[20:23] offset:528
	ds_store_b128 v46, v[24:27] offset:1056
	;; [unrolled: 3-line block ×3, first 2 shown]
	s_waitcnt lgkmcnt(0)
	s_barrier
	buffer_gl0_inv
	s_and_saveexec_b32 s1, s0
	s_cbranch_execnz .LBB0_20
; %bb.18:
	s_or_b32 exec_lo, exec_lo, s1
	s_and_b32 s0, vcc_lo, s0
	s_delay_alu instid0(SALU_CYCLE_1)
	s_and_saveexec_b32 s1, s0
	s_cbranch_execnz .LBB0_21
.LBB0_19:
	s_endpgm
.LBB0_20:
	ds_load_b128 v[8:11], v44
	ds_load_b128 v[32:35], v44 offset:1584
	ds_load_b128 v[16:19], v44 offset:3168
	;; [unrolled: 1-line block ×10, first 2 shown]
	s_or_b32 exec_lo, exec_lo, s1
	s_and_b32 s0, vcc_lo, s0
	s_delay_alu instid0(SALU_CYCLE_1)
	s_and_saveexec_b32 s1, s0
	s_cbranch_execz .LBB0_19
.LBB0_21:
	v_add_nc_u32_e32 v127, 0x129, v134
	v_mul_u32_u24_e32 v44, 10, v134
	v_mad_u64_u32 v[90:91], null, s8, v134, 0
	v_add_nc_u32_e32 v129, 0x1ef, v134
	s_delay_alu instid0(VALU_DEP_4)
	v_mad_u64_u32 v[94:95], null, s8, v127, 0
	v_add_nc_u32_e32 v126, 0xc6, v134
	v_add_nc_u32_e32 v131, 0x2b5, v134
	;; [unrolled: 1-line block ×5, first 2 shown]
	v_mad_u64_u32 v[92:93], null, s8, v126, 0
	v_lshlrev_b32_e32 v52, 4, v44
	v_mad_u64_u32 v[98:99], null, s8, v131, 0
	v_add_nc_u32_e32 v130, 0x252, v134
	v_mad_u64_u32 v[100:101], null, s8, v132, 0
	v_mad_u64_u32 v[122:123], null, s9, v134, v[91:92]
	v_mov_b32_e32 v91, v93
	s_clause 0x9
	global_load_b128 v[80:83], v52, s[4:5] offset:1536
	global_load_b128 v[76:79], v52, s[4:5] offset:1552
	;; [unrolled: 1-line block ×10, first 2 shown]
	v_mad_u64_u32 v[118:119], null, s8, v133, 0
	v_mad_u64_u32 v[120:121], null, s8, v135, 0
	v_mov_b32_e32 v93, v95
	s_mov_b32 s14, 0xbb3a28a1
	s_mov_b32 s22, 0xfd768dbf
	;; [unrolled: 1-line block ×3, first 2 shown]
	s_delay_alu instid0(VALU_DEP_3)
	v_mov_b32_e32 v95, v119
	s_mov_b32 s6, 0x8eee2c13
	s_mov_b32 s15, 0xbfe82f19
	;; [unrolled: 1-line block ×23, first 2 shown]
	s_waitcnt vmcnt(9) lgkmcnt(9)
	v_mul_f64 v[86:87], v[32:33], v[82:83]
	v_mul_f64 v[88:89], v[34:35], v[82:83]
	s_waitcnt vmcnt(8) lgkmcnt(8)
	v_mul_f64 v[96:97], v[16:17], v[78:79]
	v_mul_f64 v[78:79], v[18:19], v[78:79]
	s_waitcnt vmcnt(7) lgkmcnt(6)
	v_mul_f64 v[102:103], v[22:23], v[50:51]
	s_waitcnt vmcnt(5) lgkmcnt(2)
	v_mul_f64 v[106:107], v[42:43], v[70:71]
	v_mul_f64 v[70:71], v[40:41], v[70:71]
	s_waitcnt vmcnt(4) lgkmcnt(1)
	v_mul_f64 v[108:109], v[2:3], v[46:47]
	s_waitcnt vmcnt(3) lgkmcnt(0)
	v_mul_f64 v[110:111], v[6:7], v[66:67]
	v_mul_f64 v[66:67], v[4:5], v[66:67]
	;; [unrolled: 1-line block ×6, first 2 shown]
	s_waitcnt vmcnt(2)
	v_mul_f64 v[112:113], v[38:39], v[62:63]
	v_mul_f64 v[62:63], v[36:37], v[62:63]
	s_waitcnt vmcnt(1)
	v_mul_f64 v[114:115], v[26:27], v[58:59]
	s_waitcnt vmcnt(0)
	v_mul_f64 v[116:117], v[30:31], v[54:55]
	v_mul_f64 v[58:59], v[24:25], v[58:59]
	;; [unrolled: 1-line block ×3, first 2 shown]
	v_add_co_u32 v82, vcc_lo, s10, v84
	v_add_co_ci_u32_e32 v83, vcc_lo, s11, v85, vcc_lo
	v_fma_f64 v[34:35], v[34:35], v[80:81], -v[86:87]
	v_fma_f64 v[32:33], v[32:33], v[80:81], v[88:89]
	v_fma_f64 v[18:19], v[18:19], v[76:77], -v[96:97]
	v_fma_f64 v[16:17], v[16:17], v[76:77], v[78:79]
	v_mad_u64_u32 v[80:81], null, s8, v129, 0
	v_add_nc_u32_e32 v125, 0x63, v134
	v_fma_f64 v[20:21], v[20:21], v[48:49], v[102:103]
	v_fma_f64 v[40:41], v[40:41], v[68:69], v[106:107]
	v_fma_f64 v[42:43], v[42:43], v[68:69], -v[70:71]
	v_fma_f64 v[68:69], v[4:5], v[64:65], v[110:111]
	v_fma_f64 v[64:65], v[6:7], v[64:65], -v[66:67]
	v_dual_mov_b32 v78, v81 :: v_dual_mov_b32 v81, v99
	v_mad_u64_u32 v[88:89], null, s8, v130, 0
	v_add_nc_u32_e32 v128, 0x18c, v134
	v_fma_f64 v[6:7], v[22:23], v[48:49], -v[50:51]
	v_fma_f64 v[2:3], v[2:3], v[44:45], -v[46:47]
	v_fma_f64 v[0:1], v[0:1], v[44:45], v[108:109]
	v_fma_f64 v[12:13], v[12:13], v[72:73], v[104:105]
	v_fma_f64 v[14:15], v[14:15], v[72:73], -v[74:75]
	v_mov_b32_e32 v79, v89
	v_fma_f64 v[4:5], v[36:37], v[60:61], v[112:113]
	v_fma_f64 v[22:23], v[38:39], v[60:61], -v[62:63]
	v_fma_f64 v[24:25], v[24:25], v[56:57], v[114:115]
	v_fma_f64 v[28:29], v[28:29], v[52:53], v[116:117]
	v_mad_u64_u32 v[47:48], null, s9, v130, v[79:80]
	v_mad_u64_u32 v[44:45], null, s9, v129, v[78:79]
	;; [unrolled: 1-line block ×3, first 2 shown]
	v_fma_f64 v[26:27], v[26:27], v[56:57], -v[58:59]
	v_fma_f64 v[30:31], v[30:31], v[52:53], -v[54:55]
	v_mad_u64_u32 v[36:37], null, s9, v126, v[91:92]
	v_mov_b32_e32 v89, v101
	v_add_f64 v[96:97], v[10:11], v[34:35]
	v_add_f64 v[76:77], v[8:9], v[32:33]
	v_mad_u64_u32 v[37:38], null, s9, v127, v[93:94]
	v_mov_b32_e32 v99, v121
	v_mad_u64_u32 v[51:52], null, s9, v132, v[89:90]
	v_mov_b32_e32 v93, v36
	v_mov_b32_e32 v81, v44
	;; [unrolled: 1-line block ×3, first 2 shown]
	v_mad_u64_u32 v[84:85], null, s8, v125, 0
	v_add_f64 v[58:59], v[34:35], -v[64:65]
	v_mad_u64_u32 v[86:87], null, s8, v128, 0
	v_mov_b32_e32 v91, v122
	v_mov_b32_e32 v101, v51
	v_lshlrev_b64 v[72:73], 4, v[92:93]
	v_add_f64 v[34:35], v[34:35], v[64:65]
	v_lshlrev_b64 v[80:81], 4, v[80:81]
	v_add_f64 v[56:57], v[14:15], -v[42:43]
	v_mad_u64_u32 v[123:124], null, s9, v125, v[85:86]
	v_add_f64 v[60:61], v[20:21], -v[4:5]
	v_add_f64 v[62:63], v[6:7], -v[22:23]
	v_mad_u64_u32 v[38:39], null, s9, v128, v[87:88]
	s_delay_alu instid0(VALU_DEP_4) | instskip(SKIP_1) | instid1(VALU_DEP_3)
	v_mov_b32_e32 v85, v123
	v_add_f64 v[66:67], v[26:27], -v[30:31]
	v_mov_b32_e32 v87, v38
	v_add_f64 v[38:39], v[16:17], -v[0:1]
	s_delay_alu instid0(VALU_DEP_4)
	v_lshlrev_b64 v[70:71], 4, v[84:85]
	v_add_f64 v[45:46], v[18:19], v[96:97]
	v_add_f64 v[49:50], v[16:17], v[76:77]
	v_mad_u64_u32 v[52:53], null, s9, v133, v[95:96]
	v_mad_u64_u32 v[53:54], null, s9, v135, v[99:100]
	v_mov_b32_e32 v95, v37
	v_add_f64 v[36:37], v[12:13], -v[40:41]
	v_add_f64 v[54:55], v[32:33], -v[68:69]
	v_mov_b32_e32 v99, v48
	v_add_f64 v[47:48], v[24:25], -v[28:29]
	v_mov_b32_e32 v119, v52
	v_mov_b32_e32 v121, v53
	v_lshlrev_b64 v[51:52], 4, v[90:91]
	v_lshlrev_b64 v[74:75], 4, v[94:95]
	v_add_f64 v[76:77], v[18:19], -v[2:3]
	v_lshlrev_b64 v[90:91], 4, v[118:119]
	v_lshlrev_b64 v[92:93], 4, v[120:121]
	v_add_f64 v[32:33], v[32:33], v[68:69]
	v_add_f64 v[94:95], v[6:7], v[22:23]
	;; [unrolled: 1-line block ×3, first 2 shown]
	v_mul_f64 v[110:111], v[58:59], s[22:23]
	v_mul_f64 v[118:119], v[58:59], s[14:15]
	;; [unrolled: 1-line block ×7, first 2 shown]
	v_lshlrev_b64 v[78:79], 4, v[86:87]
	v_lshlrev_b64 v[86:87], 4, v[98:99]
	v_add_f64 v[18:19], v[18:19], v[2:3]
	v_add_f64 v[16:17], v[16:17], v[0:1]
	;; [unrolled: 1-line block ×3, first 2 shown]
	v_lshlrev_b64 v[84:85], 4, v[88:89]
	v_mul_f64 v[122:123], v[66:67], s[6:7]
	v_lshlrev_b64 v[88:89], 4, v[100:101]
	v_mul_f64 v[104:105], v[38:39], s[20:21]
	v_mul_f64 v[140:141], v[38:39], s[24:25]
	v_add_f64 v[44:45], v[14:15], v[45:46]
	v_add_f64 v[49:50], v[12:13], v[49:50]
	v_mul_f64 v[142:143], v[38:39], s[28:29]
	v_add_f64 v[100:101], v[24:25], v[28:29]
	v_add_f64 v[14:15], v[14:15], v[42:43]
	;; [unrolled: 1-line block ×3, first 2 shown]
	v_mul_f64 v[108:109], v[56:57], s[14:15]
	v_mul_f64 v[128:129], v[36:37], s[6:7]
	;; [unrolled: 1-line block ×5, first 2 shown]
	s_mov_b32 s7, 0xbfed1bb4
	v_mul_f64 v[132:133], v[54:55], s[26:27]
	v_mul_f64 v[124:125], v[54:55], s[12:13]
	;; [unrolled: 1-line block ×9, first 2 shown]
	v_fma_f64 v[184:185], v[32:33], s[16:17], -v[110:111]
	v_fma_f64 v[110:111], v[32:33], s[16:17], v[110:111]
	v_mul_f64 v[102:103], v[36:37], s[14:15]
	v_mul_f64 v[138:139], v[36:37], s[26:27]
	;; [unrolled: 1-line block ×3, first 2 shown]
	v_fma_f64 v[192:193], v[32:33], s[18:19], -v[134:135]
	v_fma_f64 v[134:135], v[32:33], s[18:19], v[134:135]
	v_fma_f64 v[188:189], v[32:33], s[4:5], -v[126:127]
	v_fma_f64 v[126:127], v[32:33], s[4:5], v[126:127]
	v_mul_f64 v[146:147], v[56:57], s[28:29]
	v_mul_f64 v[36:37], v[36:37], s[12:13]
	;; [unrolled: 1-line block ×6, first 2 shown]
	v_fma_f64 v[178:179], v[18:19], s[18:19], v[104:105]
	v_fma_f64 v[104:105], v[18:19], s[18:19], -v[104:105]
	v_add_f64 v[6:7], v[6:7], v[44:45]
	v_add_f64 v[20:21], v[20:21], v[49:50]
	v_mul_f64 v[49:50], v[38:39], s[14:15]
	v_mul_f64 v[38:39], v[38:39], s[6:7]
	;; [unrolled: 1-line block ×3, first 2 shown]
	v_fma_f64 v[196:197], v[18:19], s[4:5], v[140:141]
	v_fma_f64 v[140:141], v[18:19], s[4:5], -v[140:141]
	v_mul_f64 v[56:57], v[56:57], s[12:13]
	v_fma_f64 v[180:181], v[34:35], s[16:17], v[106:107]
	v_fma_f64 v[106:107], v[34:35], s[16:17], -v[106:107]
	v_fma_f64 v[186:187], v[34:35], s[0:1], v[116:117]
	v_fma_f64 v[116:117], v[34:35], s[0:1], -v[116:117]
	v_fma_f64 v[190:191], v[34:35], s[18:19], v[132:133]
	v_fma_f64 v[132:133], v[34:35], s[18:19], -v[132:133]
	v_fma_f64 v[200:201], v[34:35], s[2:3], v[53:54]
	v_fma_f64 v[202:203], v[32:33], s[2:3], -v[58:59]
	v_fma_f64 v[210:211], v[16:17], s[18:19], -v[136:137]
	v_fma_f64 v[136:137], v[16:17], s[18:19], v[136:137]
	v_fma_f64 v[212:213], v[16:17], s[4:5], -v[148:149]
	v_fma_f64 v[148:149], v[16:17], s[4:5], v[148:149]
	v_fma_f64 v[182:183], v[12:13], s[0:1], -v[108:109]
	v_add_f64 v[184:185], v[8:9], v[184:185]
	v_add_f64 v[110:111], v[8:9], v[110:111]
	v_fma_f64 v[176:177], v[14:15], s[0:1], v[102:103]
	v_fma_f64 v[102:103], v[14:15], s[0:1], -v[102:103]
	v_fma_f64 v[108:109], v[12:13], s[0:1], v[108:109]
	v_add_f64 v[192:193], v[8:9], v[192:193]
	v_add_f64 v[134:135], v[8:9], v[134:135]
	;; [unrolled: 1-line block ×4, first 2 shown]
	v_fma_f64 v[194:195], v[14:15], s[18:19], v[138:139]
	v_fma_f64 v[138:139], v[14:15], s[18:19], -v[138:139]
	v_mul_f64 v[162:163], v[60:61], s[24:25]
	v_mul_f64 v[164:165], v[62:63], s[24:25]
	;; [unrolled: 1-line block ×4, first 2 shown]
	v_fma_f64 v[204:205], v[12:13], s[2:3], -v[130:131]
	v_fma_f64 v[130:131], v[12:13], s[2:3], v[130:131]
	v_add_f64 v[6:7], v[26:27], v[6:7]
	v_fma_f64 v[26:27], v[32:33], s[0:1], -v[118:119]
	v_add_f64 v[20:21], v[24:25], v[20:21]
	v_fma_f64 v[118:119], v[32:33], s[0:1], v[118:119]
	v_fma_f64 v[24:25], v[34:35], s[4:5], v[124:125]
	v_fma_f64 v[124:125], v[34:35], s[4:5], -v[124:125]
	v_fma_f64 v[34:35], v[34:35], s[2:3], -v[53:54]
	v_fma_f64 v[32:33], v[32:33], s[2:3], v[58:59]
	v_fma_f64 v[58:59], v[18:19], s[16:17], v[142:143]
	v_add_f64 v[106:107], v[10:11], v[106:107]
	v_add_f64 v[186:187], v[10:11], v[186:187]
	;; [unrolled: 1-line block ×3, first 2 shown]
	v_fma_f64 v[142:143], v[18:19], s[16:17], -v[142:143]
	v_add_f64 v[132:133], v[10:11], v[132:133]
	v_fma_f64 v[208:209], v[18:19], s[0:1], v[49:50]
	v_fma_f64 v[49:50], v[18:19], s[0:1], -v[49:50]
	v_add_f64 v[180:181], v[10:11], v[180:181]
	v_add_f64 v[190:191], v[10:11], v[190:191]
	;; [unrolled: 1-line block ×4, first 2 shown]
	v_fma_f64 v[198:199], v[12:13], s[18:19], -v[44:45]
	v_fma_f64 v[44:45], v[12:13], s[18:19], v[44:45]
	v_add_f64 v[110:111], v[136:137], v[110:111]
	v_fma_f64 v[53:54], v[14:15], s[2:3], v[128:129]
	v_fma_f64 v[128:129], v[14:15], s[2:3], -v[128:129]
	v_fma_f64 v[206:207], v[14:15], s[16:17], v[144:145]
	v_fma_f64 v[144:145], v[14:15], s[16:17], -v[144:145]
	v_add_f64 v[184:185], v[210:211], v[184:185]
	v_fma_f64 v[136:137], v[96:97], s[16:17], -v[156:157]
	v_mul_f64 v[166:167], v[47:48], s[12:13]
	v_mul_f64 v[168:169], v[66:67], s[12:13]
	v_mul_f64 v[170:171], v[47:48], s[14:15]
	v_mul_f64 v[172:173], v[66:67], s[14:15]
	v_mul_f64 v[174:175], v[47:48], s[20:21]
	v_mul_f64 v[46:47], v[47:48], s[22:23]
	v_fma_f64 v[210:211], v[96:97], s[2:3], -v[114:115]
	v_fma_f64 v[114:115], v[96:97], s[2:3], v[114:115]
	v_fma_f64 v[156:157], v[96:97], s[16:17], v[156:157]
	v_add_f64 v[6:7], v[30:31], v[6:7]
	v_add_f64 v[26:27], v[8:9], v[26:27]
	;; [unrolled: 1-line block ×3, first 2 shown]
	v_fma_f64 v[30:31], v[18:19], s[2:3], -v[38:39]
	v_fma_f64 v[28:29], v[16:17], s[2:3], v[76:77]
	v_add_f64 v[118:119], v[8:9], v[118:119]
	v_add_f64 v[24:25], v[10:11], v[24:25]
	v_add_f64 v[124:125], v[10:11], v[124:125]
	v_add_f64 v[10:11], v[10:11], v[34:35]
	v_add_f64 v[8:9], v[8:9], v[32:33]
	v_fma_f64 v[32:33], v[16:17], s[0:1], v[152:153]
	v_fma_f64 v[34:35], v[16:17], s[16:17], v[150:151]
	v_fma_f64 v[150:151], v[16:17], s[16:17], -v[150:151]
	v_fma_f64 v[76:77], v[16:17], s[2:3], -v[76:77]
	;; [unrolled: 1-line block ×3, first 2 shown]
	v_fma_f64 v[18:19], v[18:19], s[2:3], v[38:39]
	v_add_f64 v[104:105], v[104:105], v[106:107]
	v_add_f64 v[186:187], v[196:197], v[186:187]
	;; [unrolled: 1-line block ×3, first 2 shown]
	v_fma_f64 v[38:39], v[12:13], s[16:17], -v[146:147]
	v_fma_f64 v[146:147], v[12:13], s[16:17], v[146:147]
	v_fma_f64 v[152:153], v[14:15], s[4:5], v[36:37]
	v_fma_f64 v[14:15], v[14:15], s[4:5], -v[36:37]
	v_fma_f64 v[36:37], v[12:13], s[4:5], -v[56:57]
	v_fma_f64 v[12:13], v[12:13], s[4:5], v[56:57]
	v_add_f64 v[178:179], v[178:179], v[180:181]
	v_fma_f64 v[180:181], v[94:95], s[2:3], v[112:113]
	v_fma_f64 v[112:113], v[94:95], s[2:3], -v[112:113]
	v_fma_f64 v[106:107], v[94:95], s[16:17], v[154:155]
	v_fma_f64 v[154:155], v[94:95], s[16:17], -v[154:155]
	v_mul_f64 v[55:56], v[66:67], s[20:21]
	v_mul_f64 v[66:67], v[66:67], s[22:23]
	v_fma_f64 v[140:141], v[94:95], s[4:5], -v[162:163]
	v_add_f64 v[6:7], v[22:23], v[6:7]
	v_add_f64 v[26:27], v[212:213], v[26:27]
	;; [unrolled: 1-line block ×9, first 2 shown]
	v_fma_f64 v[48:49], v[94:95], s[18:19], v[158:159]
	v_add_f64 v[8:9], v[32:33], v[8:9]
	v_add_f64 v[20:21], v[34:35], v[126:127]
	;; [unrolled: 1-line block ×11, first 2 shown]
	v_fma_f64 v[76:77], v[94:95], s[18:19], -v[158:159]
	v_fma_f64 v[132:133], v[94:95], s[4:5], v[162:163]
	v_fma_f64 v[148:149], v[94:95], s[0:1], v[60:61]
	v_fma_f64 v[59:60], v[94:95], s[0:1], -v[60:61]
	v_fma_f64 v[94:95], v[96:97], s[0:1], -v[62:63]
	v_fma_f64 v[61:62], v[96:97], s[0:1], v[62:63]
	v_fma_f64 v[142:143], v[96:97], s[4:5], v[164:165]
	v_fma_f64 v[126:127], v[96:97], s[18:19], v[160:161]
	v_fma_f64 v[134:135], v[96:97], s[4:5], -v[164:165]
	v_add_f64 v[162:163], v[176:177], v[178:179]
	v_add_f64 v[164:165], v[182:183], v[184:185]
	v_fma_f64 v[57:58], v[96:97], s[18:19], -v[160:161]
	v_fma_f64 v[158:159], v[98:99], s[4:5], -v[166:167]
	v_fma_f64 v[160:161], v[100:101], s[4:5], v[168:169]
	v_fma_f64 v[96:97], v[98:99], s[4:5], v[166:167]
	v_fma_f64 v[150:151], v[100:101], s[4:5], -v[168:169]
	v_add_co_u32 v50, vcc_lo, v82, v51
	v_add_f64 v[26:27], v[198:199], v[26:27]
	v_add_f64 v[6:7], v[42:43], v[6:7]
	;; [unrolled: 1-line block ×16, first 2 shown]
	v_fma_f64 v[34:35], v[100:101], s[2:3], -v[122:123]
	v_add_f64 v[102:103], v[112:113], v[102:103]
	v_add_f64 v[106:107], v[106:107], v[108:109]
	;; [unrolled: 1-line block ×3, first 2 shown]
	v_fma_f64 v[128:129], v[98:99], s[16:17], v[46:47]
	v_fma_f64 v[130:131], v[100:101], s[16:17], -v[66:67]
	v_fma_f64 v[46:47], v[98:99], s[16:17], -v[46:47]
	v_fma_f64 v[66:67], v[100:101], s[16:17], v[66:67]
	v_fma_f64 v[38:39], v[100:101], s[2:3], v[122:123]
	v_fma_f64 v[122:123], v[100:101], s[18:19], -v[55:56]
	v_fma_f64 v[124:125], v[98:99], s[18:19], -v[174:175]
	v_fma_f64 v[55:56], v[100:101], s[18:19], v[55:56]
	v_add_f64 v[104:105], v[114:115], v[104:105]
	v_fma_f64 v[53:54], v[98:99], s[0:1], -v[170:171]
	v_fma_f64 v[118:119], v[100:101], s[0:1], v[172:173]
	v_fma_f64 v[36:37], v[98:99], s[2:3], -v[120:121]
	v_fma_f64 v[32:33], v[98:99], s[2:3], v[120:121]
	v_fma_f64 v[40:41], v[98:99], s[0:1], v[170:171]
	v_fma_f64 v[42:43], v[100:101], s[0:1], -v[172:173]
	v_fma_f64 v[120:121], v[98:99], s[18:19], v[174:175]
	v_add_f64 v[98:99], v[180:181], v[162:163]
	v_add_f64 v[100:101], v[210:211], v[164:165]
	;; [unrolled: 1-line block ×18, first 2 shown]
	v_add_co_ci_u32_e32 v51, vcc_lo, v83, v52, vcc_lo
	v_add_f64 v[6:7], v[158:159], v[102:103]
	v_add_co_u32 v70, vcc_lo, v82, v70
	v_add_co_ci_u32_e32 v71, vcc_lo, v83, v71, vcc_lo
	v_add_co_u32 v72, vcc_lo, v82, v72
	v_add_co_ci_u32_e32 v73, vcc_lo, v83, v73, vcc_lo
	v_add_co_u32 v74, vcc_lo, v82, v74
	v_add_f64 v[4:5], v[160:161], v[104:105]
	v_add_co_ci_u32_e32 v75, vcc_lo, v83, v75, vcc_lo
	v_add_f64 v[14:15], v[36:37], v[108:109]
	v_add_f64 v[10:11], v[32:33], v[106:107]
	;; [unrolled: 1-line block ×20, first 2 shown]
	v_add_co_u32 v44, vcc_lo, v82, v78
	v_add_co_ci_u32_e32 v45, vcc_lo, v83, v79, vcc_lo
	v_add_co_u32 v46, vcc_lo, v82, v80
	v_add_co_ci_u32_e32 v47, vcc_lo, v83, v81, vcc_lo
	;; [unrolled: 2-line block ×7, first 2 shown]
	s_clause 0xa
	global_store_b128 v[50:51], v[24:27], off
	global_store_b128 v[70:71], v[20:23], off
	;; [unrolled: 1-line block ×11, first 2 shown]
	s_nop 0
	s_sendmsg sendmsg(MSG_DEALLOC_VGPRS)
	s_endpgm
	.section	.rodata,"a",@progbits
	.p2align	6, 0x0
	.amdhsa_kernel fft_rtc_back_len1089_factors_3_11_3_11_wgs_121_tpt_121_dp_ip_CI_sbrr_dirReg
		.amdhsa_group_segment_fixed_size 0
		.amdhsa_private_segment_fixed_size 0
		.amdhsa_kernarg_size 88
		.amdhsa_user_sgpr_count 15
		.amdhsa_user_sgpr_dispatch_ptr 0
		.amdhsa_user_sgpr_queue_ptr 0
		.amdhsa_user_sgpr_kernarg_segment_ptr 1
		.amdhsa_user_sgpr_dispatch_id 0
		.amdhsa_user_sgpr_private_segment_size 0
		.amdhsa_wavefront_size32 1
		.amdhsa_uses_dynamic_stack 0
		.amdhsa_enable_private_segment 0
		.amdhsa_system_sgpr_workgroup_id_x 1
		.amdhsa_system_sgpr_workgroup_id_y 0
		.amdhsa_system_sgpr_workgroup_id_z 0
		.amdhsa_system_sgpr_workgroup_info 0
		.amdhsa_system_vgpr_workitem_id 0
		.amdhsa_next_free_vgpr 214
		.amdhsa_next_free_sgpr 36
		.amdhsa_reserve_vcc 1
		.amdhsa_float_round_mode_32 0
		.amdhsa_float_round_mode_16_64 0
		.amdhsa_float_denorm_mode_32 3
		.amdhsa_float_denorm_mode_16_64 3
		.amdhsa_dx10_clamp 1
		.amdhsa_ieee_mode 1
		.amdhsa_fp16_overflow 0
		.amdhsa_workgroup_processor_mode 1
		.amdhsa_memory_ordered 1
		.amdhsa_forward_progress 0
		.amdhsa_shared_vgpr_count 0
		.amdhsa_exception_fp_ieee_invalid_op 0
		.amdhsa_exception_fp_denorm_src 0
		.amdhsa_exception_fp_ieee_div_zero 0
		.amdhsa_exception_fp_ieee_overflow 0
		.amdhsa_exception_fp_ieee_underflow 0
		.amdhsa_exception_fp_ieee_inexact 0
		.amdhsa_exception_int_div_zero 0
	.end_amdhsa_kernel
	.text
.Lfunc_end0:
	.size	fft_rtc_back_len1089_factors_3_11_3_11_wgs_121_tpt_121_dp_ip_CI_sbrr_dirReg, .Lfunc_end0-fft_rtc_back_len1089_factors_3_11_3_11_wgs_121_tpt_121_dp_ip_CI_sbrr_dirReg
                                        ; -- End function
	.section	.AMDGPU.csdata,"",@progbits
; Kernel info:
; codeLenInByte = 10844
; NumSgprs: 38
; NumVgprs: 214
; ScratchSize: 0
; MemoryBound: 1
; FloatMode: 240
; IeeeMode: 1
; LDSByteSize: 0 bytes/workgroup (compile time only)
; SGPRBlocks: 4
; VGPRBlocks: 26
; NumSGPRsForWavesPerEU: 38
; NumVGPRsForWavesPerEU: 214
; Occupancy: 7
; WaveLimiterHint : 1
; COMPUTE_PGM_RSRC2:SCRATCH_EN: 0
; COMPUTE_PGM_RSRC2:USER_SGPR: 15
; COMPUTE_PGM_RSRC2:TRAP_HANDLER: 0
; COMPUTE_PGM_RSRC2:TGID_X_EN: 1
; COMPUTE_PGM_RSRC2:TGID_Y_EN: 0
; COMPUTE_PGM_RSRC2:TGID_Z_EN: 0
; COMPUTE_PGM_RSRC2:TIDIG_COMP_CNT: 0
	.text
	.p2alignl 7, 3214868480
	.fill 96, 4, 3214868480
	.type	__hip_cuid_74eda95ae42de622,@object ; @__hip_cuid_74eda95ae42de622
	.section	.bss,"aw",@nobits
	.globl	__hip_cuid_74eda95ae42de622
__hip_cuid_74eda95ae42de622:
	.byte	0                               ; 0x0
	.size	__hip_cuid_74eda95ae42de622, 1

	.ident	"AMD clang version 19.0.0git (https://github.com/RadeonOpenCompute/llvm-project roc-6.4.0 25133 c7fe45cf4b819c5991fe208aaa96edf142730f1d)"
	.section	".note.GNU-stack","",@progbits
	.addrsig
	.addrsig_sym __hip_cuid_74eda95ae42de622
	.amdgpu_metadata
---
amdhsa.kernels:
  - .args:
      - .actual_access:  read_only
        .address_space:  global
        .offset:         0
        .size:           8
        .value_kind:     global_buffer
      - .offset:         8
        .size:           8
        .value_kind:     by_value
      - .actual_access:  read_only
        .address_space:  global
        .offset:         16
        .size:           8
        .value_kind:     global_buffer
      - .actual_access:  read_only
        .address_space:  global
        .offset:         24
        .size:           8
        .value_kind:     global_buffer
      - .offset:         32
        .size:           8
        .value_kind:     by_value
      - .actual_access:  read_only
        .address_space:  global
        .offset:         40
        .size:           8
        .value_kind:     global_buffer
      - .actual_access:  read_only
        .address_space:  global
        .offset:         48
        .size:           8
        .value_kind:     global_buffer
      - .offset:         56
        .size:           4
        .value_kind:     by_value
      - .actual_access:  read_only
        .address_space:  global
        .offset:         64
        .size:           8
        .value_kind:     global_buffer
      - .actual_access:  read_only
        .address_space:  global
        .offset:         72
        .size:           8
        .value_kind:     global_buffer
      - .address_space:  global
        .offset:         80
        .size:           8
        .value_kind:     global_buffer
    .group_segment_fixed_size: 0
    .kernarg_segment_align: 8
    .kernarg_segment_size: 88
    .language:       OpenCL C
    .language_version:
      - 2
      - 0
    .max_flat_workgroup_size: 121
    .name:           fft_rtc_back_len1089_factors_3_11_3_11_wgs_121_tpt_121_dp_ip_CI_sbrr_dirReg
    .private_segment_fixed_size: 0
    .sgpr_count:     38
    .sgpr_spill_count: 0
    .symbol:         fft_rtc_back_len1089_factors_3_11_3_11_wgs_121_tpt_121_dp_ip_CI_sbrr_dirReg.kd
    .uniform_work_group_size: 1
    .uses_dynamic_stack: false
    .vgpr_count:     214
    .vgpr_spill_count: 0
    .wavefront_size: 32
    .workgroup_processor_mode: 1
amdhsa.target:   amdgcn-amd-amdhsa--gfx1100
amdhsa.version:
  - 1
  - 2
...

	.end_amdgpu_metadata
